;; amdgpu-corpus repo=ROCm/rocFFT kind=compiled arch=gfx1201 opt=O3
	.text
	.amdgcn_target "amdgcn-amd-amdhsa--gfx1201"
	.amdhsa_code_object_version 6
	.protected	fft_rtc_fwd_len168_factors_2_3_4_7_wgs_140_tpt_14_dim2_sp_ip_CI_sbcc_twdbase8_3step_dirReg_intrinsicReadWrite ; -- Begin function fft_rtc_fwd_len168_factors_2_3_4_7_wgs_140_tpt_14_dim2_sp_ip_CI_sbcc_twdbase8_3step_dirReg_intrinsicReadWrite
	.globl	fft_rtc_fwd_len168_factors_2_3_4_7_wgs_140_tpt_14_dim2_sp_ip_CI_sbcc_twdbase8_3step_dirReg_intrinsicReadWrite
	.p2align	8
	.type	fft_rtc_fwd_len168_factors_2_3_4_7_wgs_140_tpt_14_dim2_sp_ip_CI_sbcc_twdbase8_3step_dirReg_intrinsicReadWrite,@function
fft_rtc_fwd_len168_factors_2_3_4_7_wgs_140_tpt_14_dim2_sp_ip_CI_sbcc_twdbase8_3step_dirReg_intrinsicReadWrite: ; @fft_rtc_fwd_len168_factors_2_3_4_7_wgs_140_tpt_14_dim2_sp_ip_CI_sbcc_twdbase8_3step_dirReg_intrinsicReadWrite
; %bb.0:
	s_load_b128 s[4:7], s[0:1], 0x10
	s_mov_b32 s11, 0
	s_mov_b32 s2, 0x99986000
	s_movk_i32 s3, 0x59
	s_mov_b32 s10, s11
	s_delay_alu instid0(SALU_CYCLE_1) | instskip(NEXT) | instid1(SALU_CYCLE_1)
	s_add_nc_u64 s[8:9], s[10:11], s[2:3]
	s_add_co_i32 s9, s9, 0x19999940
	s_delay_alu instid0(SALU_CYCLE_1) | instskip(NEXT) | instid1(SALU_CYCLE_1)
	s_mul_u64 s[12:13], s[8:9], -10
	s_mul_hi_u32 s10, s8, s12
	s_mul_i32 s15, s9, s12
	s_mul_hi_u32 s14, s9, s12
	s_mul_hi_u32 s16, s9, s13
	s_mul_i32 s12, s9, s13
	s_wait_kmcnt 0x0
	s_load_b64 s[2:3], s[4:5], 0x8
	s_mul_hi_u32 s5, s8, s13
	s_mul_i32 s4, s8, s13
	s_delay_alu instid0(SALU_CYCLE_1) | instskip(NEXT) | instid1(SALU_CYCLE_1)
	s_add_nc_u64 s[4:5], s[10:11], s[4:5]
	s_add_co_u32 s4, s4, s15
	s_add_co_ci_u32 s10, s5, s14
	s_add_co_ci_u32 s13, s16, 0
	s_delay_alu instid0(SALU_CYCLE_1) | instskip(NEXT) | instid1(SALU_CYCLE_1)
	s_add_nc_u64 s[4:5], s[10:11], s[12:13]
	v_add_co_u32 v1, s4, s8, s4
	s_delay_alu instid0(VALU_DEP_1) | instskip(SKIP_1) | instid1(VALU_DEP_1)
	s_cmp_lg_u32 s4, 0
	s_add_co_ci_u32 s12, s9, s5
	v_readfirstlane_b32 s13, v1
	s_wait_kmcnt 0x0
	s_add_nc_u64 s[4:5], s[2:3], -1
	s_wait_alu 0xfffe
	s_mul_hi_u32 s9, s4, s12
	s_mul_i32 s8, s4, s12
	s_mul_hi_u32 s10, s4, s13
	s_mul_hi_u32 s15, s5, s13
	s_mul_i32 s13, s5, s13
	s_wait_alu 0xfffe
	s_add_nc_u64 s[8:9], s[10:11], s[8:9]
	s_mul_hi_u32 s14, s5, s12
	s_wait_alu 0xfffe
	s_add_co_u32 s8, s8, s13
	s_add_co_ci_u32 s10, s9, s15
	s_mul_i32 s12, s5, s12
	s_add_co_ci_u32 s13, s14, 0
	s_delay_alu instid0(SALU_CYCLE_1) | instskip(NEXT) | instid1(SALU_CYCLE_1)
	s_add_nc_u64 s[12:13], s[10:11], s[12:13]
	s_mul_u64 s[8:9], s[12:13], 10
	s_wait_alu 0xfffe
	v_sub_co_u32 v1, s4, s4, s8
	s_delay_alu instid0(VALU_DEP_1) | instskip(SKIP_1) | instid1(VALU_DEP_1)
	s_cmp_lg_u32 s4, 0
	s_sub_co_ci_u32 s10, s5, s9
	v_sub_co_u32 v2, s8, v1, 10
	s_delay_alu instid0(VALU_DEP_1) | instskip(SKIP_2) | instid1(VALU_DEP_2)
	s_cmp_lg_u32 s8, 0
	v_readfirstlane_b32 s15, v1
	s_sub_co_ci_u32 s8, s10, 0
	v_readfirstlane_b32 s4, v2
	s_delay_alu instid0(VALU_DEP_1)
	s_cmp_gt_u32 s4, 9
	s_add_nc_u64 s[4:5], s[12:13], 1
	s_cselect_b32 s14, -1, 0
	s_wait_alu 0xfffe
	s_cmp_eq_u32 s8, 0
	s_add_nc_u64 s[8:9], s[12:13], 2
	s_cselect_b32 s14, s14, -1
	s_delay_alu instid0(SALU_CYCLE_1)
	s_cmp_lg_u32 s14, 0
	s_wait_alu 0xfffe
	s_cselect_b32 s14, s8, s4
	s_cselect_b32 s16, s9, s5
	s_cmp_gt_u32 s15, 9
	s_load_b64 s[4:5], s[0:1], 0x50
	s_cselect_b32 s8, -1, 0
	s_cmp_eq_u32 s10, 0
	s_wait_alu 0xfffe
	s_cselect_b32 s10, s8, -1
	s_load_b64 s[8:9], s[6:7], 0x0
	s_cmp_lg_u32 s10, 0
	s_mov_b32 s10, ttmp9
	s_cselect_b32 s13, s16, s13
	s_cselect_b32 s12, s14, s12
	s_mov_b64 s[14:15], 0
	s_add_nc_u64 s[12:13], s[12:13], 1
	s_wait_kmcnt 0x0
	v_cmp_lt_u64_e64 s9, s[10:11], s[12:13]
	s_delay_alu instid0(VALU_DEP_1)
	s_and_b32 vcc_lo, exec_lo, s9
	s_cbranch_vccnz .LBB0_2
; %bb.1:
	v_cvt_f32_u32_e32 v1, s12
	s_sub_co_i32 s14, 0, s12
	s_delay_alu instid0(VALU_DEP_1) | instskip(NEXT) | instid1(TRANS32_DEP_1)
	v_rcp_iflag_f32_e32 v1, v1
	v_mul_f32_e32 v1, 0x4f7ffffe, v1
	s_delay_alu instid0(VALU_DEP_1) | instskip(NEXT) | instid1(VALU_DEP_1)
	v_cvt_u32_f32_e32 v1, v1
	v_readfirstlane_b32 s9, v1
	s_delay_alu instid0(VALU_DEP_1) | instskip(NEXT) | instid1(SALU_CYCLE_1)
	s_mul_i32 s14, s14, s9
	s_mul_hi_u32 s14, s9, s14
	s_delay_alu instid0(SALU_CYCLE_1)
	s_add_co_i32 s9, s9, s14
	s_wait_alu 0xfffe
	s_mul_hi_u32 s9, s10, s9
	s_wait_alu 0xfffe
	s_mul_i32 s14, s9, s12
	s_add_co_i32 s15, s9, 1
	s_sub_co_i32 s14, s10, s14
	s_delay_alu instid0(SALU_CYCLE_1)
	s_sub_co_i32 s16, s14, s12
	s_cmp_ge_u32 s14, s12
	s_cselect_b32 s9, s15, s9
	s_cselect_b32 s14, s16, s14
	s_wait_alu 0xfffe
	s_add_co_i32 s15, s9, 1
	s_cmp_ge_u32 s14, s12
	s_cselect_b32 s14, s15, s9
	s_mov_b32 s15, s11
.LBB0_2:
	v_mul_u32_u24_e32 v1, 0x199a, v0
	s_load_b128 s[16:19], s[6:7], 0x8
	s_mul_u64 s[6:7], s[14:15], s[12:13]
	v_mov_b32_e32 v4, 0
	s_sub_nc_u64 s[6:7], s[10:11], s[6:7]
	v_lshrrev_b32_e32 v87, 16, v1
	s_mul_u64 s[6:7], s[6:7], 10
	s_delay_alu instid0(SALU_CYCLE_1) | instskip(SKIP_3) | instid1(VALU_DEP_1)
	s_add_nc_u64 s[10:11], s[6:7], 10
	s_wait_alu 0xfffe
	v_cmp_le_u64_e64 s9, s[10:11], s[2:3]
	v_mul_lo_u16 v1, v87, 10
	v_sub_nc_u16 v1, v0, v1
	s_delay_alu instid0(VALU_DEP_1) | instskip(SKIP_1) | instid1(VALU_DEP_1)
	v_and_b32_e32 v28, 0xffff, v1
	s_wait_kmcnt 0x0
	v_mad_co_u64_u32 v[35:36], null, s16, v28, 0
	s_delay_alu instid0(VALU_DEP_1) | instskip(SKIP_3) | instid1(VALU_DEP_3)
	v_mov_b32_e32 v1, v36
	v_add_co_u32 v33, s10, s6, v28
	s_wait_alu 0xf1ff
	v_add_co_ci_u32_e64 v34, null, s7, 0, s10
	v_mad_co_u64_u32 v[1:2], null, s17, v28, v[1:2]
	v_mov_b32_e32 v2, 0
	s_delay_alu instid0(VALU_DEP_3)
	v_cmp_gt_u64_e32 vcc_lo, s[2:3], v[33:34]
	v_mov_b32_e32 v1, 0
	s_mul_u64 s[6:7], s[6:7], s[16:17]
	s_mul_u64 s[10:11], s[18:19], s[14:15]
	s_wait_alu 0xfffe
	s_add_nc_u64 s[10:11], s[10:11], s[6:7]
	s_or_b32 s3, s9, vcc_lo
	s_wait_alu 0xfffe
	s_and_saveexec_b32 s6, s3
	s_cbranch_execz .LBB0_4
; %bb.3:
	v_mul_lo_u32 v1, s8, v87
	v_mov_b32_e32 v2, 0
	s_delay_alu instid0(VALU_DEP_2) | instskip(NEXT) | instid1(VALU_DEP_1)
	v_add3_u32 v1, s10, v35, v1
	v_lshlrev_b64_e32 v[1:2], 3, v[1:2]
	s_delay_alu instid0(VALU_DEP_1) | instskip(SKIP_1) | instid1(VALU_DEP_2)
	v_add_co_u32 v1, s2, s4, v1
	s_wait_alu 0xf1ff
	v_add_co_ci_u32_e64 v2, s2, s5, v2, s2
	global_load_b64 v[1:2], v[1:2], off
.LBB0_4:
	s_wait_alu 0xfffe
	s_or_b32 exec_lo, exec_lo, s6
	v_mov_b32_e32 v3, 0
	s_and_saveexec_b32 s6, s3
	s_cbranch_execz .LBB0_6
; %bb.5:
	v_dual_mov_b32 v4, 0 :: v_dual_add_nc_u32 v3, 0x54, v87
	s_delay_alu instid0(VALU_DEP_1) | instskip(NEXT) | instid1(VALU_DEP_1)
	v_mul_lo_u32 v3, s8, v3
	v_add3_u32 v3, s10, v35, v3
	s_delay_alu instid0(VALU_DEP_1) | instskip(NEXT) | instid1(VALU_DEP_1)
	v_lshlrev_b64_e32 v[3:4], 3, v[3:4]
	v_add_co_u32 v3, s2, s4, v3
	s_wait_alu 0xf1ff
	s_delay_alu instid0(VALU_DEP_2)
	v_add_co_ci_u32_e64 v4, s2, s5, v4, s2
	global_load_b64 v[3:4], v[3:4], off
.LBB0_6:
	s_wait_alu 0xfffe
	s_or_b32 exec_lo, exec_lo, s6
	v_dual_mov_b32 v5, 0 :: v_dual_add_nc_u32 v86, 14, v87
	v_mov_b32_e32 v8, 0
	v_mov_b32_e32 v6, 0
	s_and_saveexec_b32 s6, s3
	s_cbranch_execz .LBB0_8
; %bb.7:
	v_mul_lo_u32 v5, s8, v86
	v_mov_b32_e32 v6, 0
	s_delay_alu instid0(VALU_DEP_2) | instskip(NEXT) | instid1(VALU_DEP_1)
	v_add3_u32 v5, s10, v35, v5
	v_lshlrev_b64_e32 v[5:6], 3, v[5:6]
	s_delay_alu instid0(VALU_DEP_1) | instskip(SKIP_1) | instid1(VALU_DEP_2)
	v_add_co_u32 v5, s2, s4, v5
	s_wait_alu 0xf1ff
	v_add_co_ci_u32_e64 v6, s2, s5, v6, s2
	global_load_b64 v[5:6], v[5:6], off
.LBB0_8:
	s_wait_alu 0xfffe
	s_or_b32 exec_lo, exec_lo, s6
	v_mov_b32_e32 v7, 0
	s_and_saveexec_b32 s6, s3
	s_cbranch_execz .LBB0_10
; %bb.9:
	v_dual_mov_b32 v8, 0 :: v_dual_add_nc_u32 v7, 0x62, v87
	s_delay_alu instid0(VALU_DEP_1) | instskip(NEXT) | instid1(VALU_DEP_1)
	v_mul_lo_u32 v7, s8, v7
	v_add3_u32 v7, s10, v35, v7
	s_delay_alu instid0(VALU_DEP_1) | instskip(NEXT) | instid1(VALU_DEP_1)
	v_lshlrev_b64_e32 v[7:8], 3, v[7:8]
	v_add_co_u32 v7, s2, s4, v7
	s_wait_alu 0xf1ff
	s_delay_alu instid0(VALU_DEP_2)
	v_add_co_ci_u32_e64 v8, s2, s5, v8, s2
	global_load_b64 v[7:8], v[7:8], off
.LBB0_10:
	s_wait_alu 0xfffe
	s_or_b32 exec_lo, exec_lo, s6
	v_dual_mov_b32 v12, 0 :: v_dual_add_nc_u32 v25, 28, v87
	v_dual_mov_b32 v10, 0 :: v_dual_mov_b32 v9, 0
	s_and_saveexec_b32 s6, s3
	s_cbranch_execz .LBB0_12
; %bb.11:
	s_delay_alu instid0(VALU_DEP_2) | instskip(SKIP_1) | instid1(VALU_DEP_2)
	v_mul_lo_u32 v9, s8, v25
	v_mov_b32_e32 v10, 0
	v_add3_u32 v9, s10, v35, v9
	s_delay_alu instid0(VALU_DEP_1) | instskip(NEXT) | instid1(VALU_DEP_1)
	v_lshlrev_b64_e32 v[9:10], 3, v[9:10]
	v_add_co_u32 v9, s2, s4, v9
	s_wait_alu 0xf1ff
	s_delay_alu instid0(VALU_DEP_2)
	v_add_co_ci_u32_e64 v10, s2, s5, v10, s2
	global_load_b64 v[9:10], v[9:10], off
.LBB0_12:
	s_wait_alu 0xfffe
	s_or_b32 exec_lo, exec_lo, s6
	v_mov_b32_e32 v11, 0
	s_and_saveexec_b32 s6, s3
	s_cbranch_execz .LBB0_14
; %bb.13:
	v_dual_mov_b32 v12, 0 :: v_dual_add_nc_u32 v11, 0x70, v87
	s_delay_alu instid0(VALU_DEP_1) | instskip(NEXT) | instid1(VALU_DEP_1)
	v_mul_lo_u32 v11, s8, v11
	v_add3_u32 v11, s10, v35, v11
	s_delay_alu instid0(VALU_DEP_1) | instskip(NEXT) | instid1(VALU_DEP_1)
	v_lshlrev_b64_e32 v[11:12], 3, v[11:12]
	v_add_co_u32 v11, s2, s4, v11
	s_wait_alu 0xf1ff
	s_delay_alu instid0(VALU_DEP_2)
	v_add_co_ci_u32_e64 v12, s2, s5, v12, s2
	global_load_b64 v[11:12], v[11:12], off
.LBB0_14:
	s_wait_alu 0xfffe
	s_or_b32 exec_lo, exec_lo, s6
	v_dual_mov_b32 v16, 0 :: v_dual_add_nc_u32 v27, 42, v87
	v_dual_mov_b32 v14, 0 :: v_dual_mov_b32 v13, 0
	s_and_saveexec_b32 s6, s3
	s_cbranch_execz .LBB0_16
; %bb.15:
	s_delay_alu instid0(VALU_DEP_2) | instskip(SKIP_1) | instid1(VALU_DEP_2)
	v_mul_lo_u32 v13, s8, v27
	v_mov_b32_e32 v14, 0
	v_add3_u32 v13, s10, v35, v13
	s_delay_alu instid0(VALU_DEP_1) | instskip(NEXT) | instid1(VALU_DEP_1)
	v_lshlrev_b64_e32 v[13:14], 3, v[13:14]
	v_add_co_u32 v13, s2, s4, v13
	s_wait_alu 0xf1ff
	s_delay_alu instid0(VALU_DEP_2)
	v_add_co_ci_u32_e64 v14, s2, s5, v14, s2
	global_load_b64 v[13:14], v[13:14], off
.LBB0_16:
	s_wait_alu 0xfffe
	s_or_b32 exec_lo, exec_lo, s6
	v_mov_b32_e32 v15, 0
	s_and_saveexec_b32 s6, s3
	s_cbranch_execz .LBB0_18
; %bb.17:
	v_dual_mov_b32 v16, 0 :: v_dual_add_nc_u32 v15, 0x7e, v87
	s_delay_alu instid0(VALU_DEP_1) | instskip(NEXT) | instid1(VALU_DEP_1)
	v_mul_lo_u32 v15, s8, v15
	v_add3_u32 v15, s10, v35, v15
	s_delay_alu instid0(VALU_DEP_1) | instskip(NEXT) | instid1(VALU_DEP_1)
	v_lshlrev_b64_e32 v[15:16], 3, v[15:16]
	v_add_co_u32 v15, s2, s4, v15
	s_wait_alu 0xf1ff
	s_delay_alu instid0(VALU_DEP_2)
	v_add_co_ci_u32_e64 v16, s2, s5, v16, s2
	global_load_b64 v[15:16], v[15:16], off
.LBB0_18:
	s_wait_alu 0xfffe
	s_or_b32 exec_lo, exec_lo, s6
	v_dual_mov_b32 v17, 0 :: v_dual_add_nc_u32 v26, 56, v87
	v_mov_b32_e32 v20, 0
	v_mov_b32_e32 v18, 0
	s_and_saveexec_b32 s6, s3
	s_cbranch_execz .LBB0_20
; %bb.19:
	v_mul_lo_u32 v17, s8, v26
	v_mov_b32_e32 v18, 0
	s_delay_alu instid0(VALU_DEP_2) | instskip(NEXT) | instid1(VALU_DEP_1)
	v_add3_u32 v17, s10, v35, v17
	v_lshlrev_b64_e32 v[17:18], 3, v[17:18]
	s_delay_alu instid0(VALU_DEP_1) | instskip(SKIP_1) | instid1(VALU_DEP_2)
	v_add_co_u32 v17, s2, s4, v17
	s_wait_alu 0xf1ff
	v_add_co_ci_u32_e64 v18, s2, s5, v18, s2
	global_load_b64 v[17:18], v[17:18], off
.LBB0_20:
	s_wait_alu 0xfffe
	s_or_b32 exec_lo, exec_lo, s6
	v_mov_b32_e32 v19, 0
	s_and_saveexec_b32 s6, s3
	s_cbranch_execz .LBB0_22
; %bb.21:
	v_dual_mov_b32 v20, 0 :: v_dual_add_nc_u32 v19, 0x8c, v87
	s_delay_alu instid0(VALU_DEP_1) | instskip(NEXT) | instid1(VALU_DEP_1)
	v_mul_lo_u32 v19, s8, v19
	v_add3_u32 v19, s10, v35, v19
	s_delay_alu instid0(VALU_DEP_1) | instskip(NEXT) | instid1(VALU_DEP_1)
	v_lshlrev_b64_e32 v[19:20], 3, v[19:20]
	v_add_co_u32 v19, s2, s4, v19
	s_wait_alu 0xf1ff
	s_delay_alu instid0(VALU_DEP_2)
	v_add_co_ci_u32_e64 v20, s2, s5, v20, s2
	global_load_b64 v[19:20], v[19:20], off
.LBB0_22:
	s_wait_alu 0xfffe
	s_or_b32 exec_lo, exec_lo, s6
	s_load_b64 s[6:7], s[0:1], 0x0
	v_dual_mov_b32 v24, 0 :: v_dual_mov_b32 v21, 0
	v_mov_b32_e32 v22, 0
	s_and_saveexec_b32 s11, s3
	s_cbranch_execz .LBB0_24
; %bb.23:
	v_dual_mov_b32 v22, 0 :: v_dual_add_nc_u32 v21, 0x46, v87
	s_delay_alu instid0(VALU_DEP_1) | instskip(NEXT) | instid1(VALU_DEP_1)
	v_mul_lo_u32 v21, s8, v21
	v_add3_u32 v21, s10, v35, v21
	s_delay_alu instid0(VALU_DEP_1) | instskip(NEXT) | instid1(VALU_DEP_1)
	v_lshlrev_b64_e32 v[21:22], 3, v[21:22]
	v_add_co_u32 v21, s2, s4, v21
	s_wait_alu 0xf1ff
	s_delay_alu instid0(VALU_DEP_2)
	v_add_co_ci_u32_e64 v22, s2, s5, v22, s2
	global_load_b64 v[21:22], v[21:22], off
.LBB0_24:
	s_wait_alu 0xfffe
	s_or_b32 exec_lo, exec_lo, s11
	v_mov_b32_e32 v23, 0
	s_and_saveexec_b32 s11, s3
	s_cbranch_execz .LBB0_26
; %bb.25:
	v_dual_mov_b32 v24, 0 :: v_dual_add_nc_u32 v23, 0x9a, v87
	s_delay_alu instid0(VALU_DEP_1) | instskip(NEXT) | instid1(VALU_DEP_1)
	v_mul_lo_u32 v23, s8, v23
	v_add3_u32 v23, s10, v35, v23
	s_delay_alu instid0(VALU_DEP_1) | instskip(NEXT) | instid1(VALU_DEP_1)
	v_lshlrev_b64_e32 v[23:24], 3, v[23:24]
	v_add_co_u32 v23, s2, s4, v23
	s_wait_alu 0xf1ff
	s_delay_alu instid0(VALU_DEP_2)
	v_add_co_ci_u32_e64 v24, s2, s5, v24, s2
	global_load_b64 v[23:24], v[23:24], off
.LBB0_26:
	s_wait_alu 0xfffe
	s_or_b32 exec_lo, exec_lo, s11
	s_wait_loadcnt 0x0
	v_dual_sub_f32 v3, v1, v3 :: v_dual_sub_f32 v4, v2, v4
	v_dual_sub_f32 v7, v5, v7 :: v_dual_sub_f32 v8, v6, v8
	;; [unrolled: 1-line block ×3, first 2 shown]
	s_delay_alu instid0(VALU_DEP_3) | instskip(NEXT) | instid1(VALU_DEP_4)
	v_fma_f32 v29, v1, 2.0, -v3
	v_fma_f32 v30, v2, 2.0, -v4
	v_dual_sub_f32 v2, v13, v15 :: v_dual_sub_f32 v31, v14, v16
	v_mul_u32_u24_e32 v15, 0xa0, v87
	v_lshlrev_b32_e32 v1, 3, v28
	v_fma_f32 v5, v5, 2.0, -v7
	v_fma_f32 v6, v6, 2.0, -v8
	v_dual_sub_f32 v19, v17, v19 :: v_dual_sub_f32 v20, v18, v20
	s_delay_alu instid0(VALU_DEP_4) | instskip(SKIP_3) | instid1(VALU_DEP_4)
	v_add3_u32 v28, 0, v15, v1
	v_dual_sub_f32 v15, v21, v23 :: v_dual_sub_f32 v16, v22, v24
	v_fma_f32 v9, v9, 2.0, -v11
	v_fma_f32 v10, v10, 2.0, -v12
	v_add_nc_u32_e32 v24, 0x800, v28
	v_add_nc_u32_e32 v34, 0x1000, v28
	v_fma_f32 v13, v13, 2.0, -v2
	v_fma_f32 v14, v14, 2.0, -v31
	ds_store_2addr_b64 v28, v[29:30], v[3:4] offset1:10
	ds_store_2addr_b64 v24, v[5:6], v[7:8] offset0:24 offset1:34
	ds_store_2addr_b64 v34, v[9:10], v[11:12] offset0:48 offset1:58
	v_add_nc_u32_e32 v3, 0x1800, v28
	v_and_b32_e32 v6, 1, v87
	v_fma_f32 v32, v17, 2.0, -v19
	v_fma_f32 v23, v18, 2.0, -v20
	v_add_nc_u32_e32 v4, 0x2000, v28
	v_fma_f32 v17, v21, 2.0, -v15
	v_fma_f32 v18, v22, 2.0, -v16
	v_add_nc_u32_e32 v5, 0x2800, v28
	ds_store_b64 v28, v[13:14] offset:6720
	ds_store_2addr_b32 v3, v2, v31 offset0:164 offset1:165
	ds_store_2addr_b32 v4, v32, v23 offset0:192 offset1:193
	;; [unrolled: 1-line block ×3, first 2 shown]
	ds_store_2addr_b64 v5, v[17:18], v[15:16] offset0:120 offset1:130
	v_lshlrev_b32_e32 v2, 4, v6
	global_wb scope:SCOPE_SE
	s_wait_dscnt 0x0
	s_wait_kmcnt 0x0
	s_barrier_signal -1
	s_barrier_wait -1
	global_inv scope:SCOPE_SE
	global_load_b128 v[7:10], v2, s[6:7]
	v_mul_u32_u24_e32 v2, 0x50, v87
	v_lshrrev_b32_e32 v3, 1, v87
	v_lshrrev_b32_e32 v4, 1, v86
	;; [unrolled: 1-line block ×4, first 2 shown]
	v_mul_lo_u16 v14, v87, 43
	v_add3_u32 v5, 0, v2, v1
	v_mul_u32_u24_e32 v2, 6, v3
	v_mul_u32_u24_e32 v3, 6, v4
	v_mul_u32_u24_e32 v4, 6, v11
	v_mul_u32_u24_e32 v11, 6, v12
	v_add_nc_u32_e32 v12, 0x2300, v28
	v_mul_lo_u16 v15, v25, 43
	v_lshrrev_b16 v32, 8, v14
	v_add_nc_u32_e32 v14, 0x1c00, v5
	v_add_nc_u32_e32 v18, 0x1400, v5
	v_add_nc_u32_e32 v22, 0x2400, v5
	v_mul_lo_u16 v13, v86, 43
	v_or_b32_e32 v23, v2, v6
	v_mad_i32_i24 v37, 0xffffffb0, v26, v12
	v_lshrrev_b16 v38, 8, v15
	v_or_b32_e32 v24, v3, v6
	v_or_b32_e32 v4, v4, v6
	;; [unrolled: 1-line block ×3, first 2 shown]
	ds_load_2addr_b64 v[14:17], v14 offset0:84 offset1:224
	ds_load_2addr_b64 v[18:21], v18 offset0:60 offset1:200
	;; [unrolled: 1-line block ×3, first 2 shown]
	ds_load_b64 v[2:3], v5
	ds_load_b64 v[11:12], v5 offset:12320
	v_lshrrev_b16 v34, 8, v13
	v_mul_u32_u24_e32 v39, 0x50, v23
	ds_load_b64 v[22:23], v37
	v_mul_lo_u16 v30, v32, 6
	v_mul_lo_u16 v36, v38, 6
	;; [unrolled: 1-line block ×3, first 2 shown]
	v_mul_u32_u24_e32 v24, 0x50, v24
	v_mul_u32_u24_e32 v40, 0x50, v6
	v_sub_nc_u16 v30, v87, v30
	v_sub_nc_u16 v25, v25, v36
	;; [unrolled: 1-line block ×3, first 2 shown]
	v_mul_u32_u24_e32 v4, 0x50, v4
	s_mov_b32 s11, exec_lo
	s_wait_loadcnt_dscnt 0x5
	s_delay_alu instid0(VALU_DEP_2)
	v_dual_mul_f32 v50, v10, v16 :: v_dual_and_b32 v45, 0xff, v31
	s_wait_dscnt 0x4
	v_mul_f32_e32 v51, v8, v19
	s_wait_dscnt 0x0
	v_dual_mul_f32 v53, v10, v27 :: v_dual_mul_f32 v48, v8, v22
	v_dual_mul_f32 v49, v10, v17 :: v_dual_mul_f32 v52, v8, v18
	v_mul_f32_e32 v55, v8, v21
	v_mul_f32_e32 v57, v10, v29
	;; [unrolled: 1-line block ×3, first 2 shown]
	v_dual_mul_f32 v61, v11, v10 :: v_dual_fmac_f32 v50, v9, v17
	v_fma_f32 v17, v7, v18, -v51
	v_fma_f32 v18, v9, v26, -v53
	v_mul_f32_e32 v56, v8, v20
	v_mul_f32_e32 v58, v10, v28
	v_dual_fmac_f32 v61, v12, v9 :: v_dual_and_b32 v44, 0xff, v30
	v_mul_f32_e32 v47, v8, v23
	v_fmac_f32_e32 v52, v7, v19
	v_fma_f32 v19, v7, v20, -v55
	v_fma_f32 v20, v9, v28, -v57
	v_mul_f32_e32 v8, v8, v14
	v_fma_f32 v14, v7, v14, -v59
	v_fmac_f32_e32 v58, v9, v29
	v_dual_fmac_f32 v48, v7, v23 :: v_dual_add_f32 v23, v17, v18
	v_fmac_f32_e32 v56, v7, v21
	v_mul_f32_e32 v60, v12, v10
	v_mul_f32_e32 v54, v10, v26
	v_fma_f32 v10, v7, v22, -v47
	v_fma_f32 v16, v9, v16, -v49
	v_dual_add_f32 v47, v19, v20 :: v_dual_add_nc_u32 v6, 0xfffff2e0, v37
	v_fmac_f32_e32 v8, v7, v15
	v_fma_f32 v15, v11, v9, -v60
	v_add3_u32 v41, 0, v24, v1
	v_dual_fmac_f32 v54, v9, v27 :: v_dual_add_f32 v9, v10, v16
	s_delay_alu instid0(VALU_DEP_4) | instskip(NEXT) | instid1(VALU_DEP_4)
	v_add_f32_e32 v57, v8, v61
	v_add_f32_e32 v53, v14, v15
	v_sub_f32_e32 v59, v14, v15
	v_dual_add_f32 v51, v56, v58 :: v_dual_and_b32 v46, 0xff, v25
	ds_load_2addr_b32 v[24:25], v6 offset1:1
	v_dual_add_f32 v11, v3, v48 :: v_dual_add_nc_u32 v30, 0x400, v6
	v_dual_sub_f32 v55, v8, v61 :: v_dual_add_nc_u32 v36, 0x800, v6
	v_mul_u32_u24_e32 v42, 3, v44
	v_add_f32_e32 v7, v2, v10
	v_sub_f32_e32 v29, v17, v18
	v_fma_f32 v2, -0.5, v9, v2
	v_add3_u32 v39, 0, v39, v1
	v_mul_u32_u24_e32 v43, 3, v45
	v_add_f32_e32 v7, v7, v16
	v_add3_u32 v4, 0, v4, v1
	v_add3_u32 v40, 0, v40, v1
	s_wait_dscnt 0x0
	v_add_f32_e32 v27, v25, v52
	ds_load_2addr_b32 v[30:31], v30 offset0:24 offset1:25
	ds_load_2addr_b32 v[36:37], v36 offset0:48 offset1:49
	v_lshlrev_b32_e32 v42, 3, v42
	v_sub_f32_e32 v22, v10, v16
	v_add_f32_e32 v28, v52, v54
	v_add_f32_e32 v10, v24, v17
	v_fma_f32 v24, -0.5, v23, v24
	global_wb scope:SCOPE_SE
	s_wait_dscnt 0x0
	s_barrier_signal -1
	s_barrier_wait -1
	global_inv scope:SCOPE_SE
	v_dual_add_f32 v17, v30, v19 :: v_dual_sub_f32 v26, v52, v54
	v_dual_sub_f32 v52, v19, v20 :: v_dual_add_f32 v19, v36, v14
	v_add_f32_e32 v12, v48, v50
	v_sub_f32_e32 v21, v48, v50
	v_add_f32_e32 v49, v31, v56
	v_fmac_f32_e32 v31, -0.5, v51
	v_fma_f32 v30, -0.5, v47, v30
	v_dual_fmac_f32 v3, -0.5, v12 :: v_dual_sub_f32 v48, v56, v58
	v_dual_add_f32 v56, v37, v8 :: v_dual_fmac_f32 v37, -0.5, v57
	v_dual_fmac_f32 v25, -0.5, v28 :: v_dual_add_f32 v8, v11, v50
	v_add_f32_e32 v9, v10, v18
	v_add_f32_e32 v11, v17, v20
	v_fma_f32 v36, -0.5, v53, v36
	v_fmamk_f32 v16, v21, 0x3f5db3d7, v2
	v_dual_fmamk_f32 v17, v22, 0xbf5db3d7, v3 :: v_dual_fmac_f32 v2, 0xbf5db3d7, v21
	v_fmamk_f32 v23, v59, 0xbf5db3d7, v37
	v_fmac_f32_e32 v3, 0x3f5db3d7, v22
	v_add_f32_e32 v10, v27, v54
	v_dual_add_f32 v14, v19, v15 :: v_dual_fmamk_f32 v21, v52, 0xbf5db3d7, v31
	v_dual_fmamk_f32 v18, v26, 0x3f5db3d7, v24 :: v_dual_fmac_f32 v37, 0x3f5db3d7, v59
	v_fmamk_f32 v19, v29, 0xbf5db3d7, v25
	v_dual_add_f32 v12, v49, v58 :: v_dual_fmac_f32 v25, 0x3f5db3d7, v29
	v_fmac_f32_e32 v24, 0xbf5db3d7, v26
	v_fmamk_f32 v20, v48, 0x3f5db3d7, v30
	v_dual_add_f32 v15, v56, v61 :: v_dual_fmac_f32 v30, 0xbf5db3d7, v48
	v_dual_fmac_f32 v31, 0x3f5db3d7, v52 :: v_dual_fmamk_f32 v22, v55, 0x3f5db3d7, v36
	v_fmac_f32_e32 v36, 0xbf5db3d7, v55
	ds_store_2addr_b64 v39, v[7:8], v[16:17] offset1:20
	ds_store_b64 v39, v[2:3] offset:320
	ds_store_2addr_b64 v41, v[9:10], v[18:19] offset1:20
	ds_store_b64 v41, v[24:25] offset:320
	;; [unrolled: 2-line block ×4, first 2 shown]
	v_lshlrev_b32_e32 v2, 3, v43
	global_wb scope:SCOPE_SE
	s_wait_dscnt 0x0
	s_barrier_signal -1
	s_barrier_wait -1
	global_inv scope:SCOPE_SE
	s_clause 0x2
	global_load_b128 v[8:11], v42, s[6:7] offset:32
	global_load_b64 v[30:31], v42, s[6:7] offset:48
	global_load_b128 v[14:17], v2, s[6:7] offset:32
	v_mul_u32_u24_e32 v3, 3, v46
	s_delay_alu instid0(VALU_DEP_1)
	v_lshlrev_b32_e32 v3, 3, v3
	s_clause 0x2
	global_load_b64 v[40:41], v2, s[6:7] offset:48
	global_load_b128 v[18:21], v3, s[6:7] offset:32
	global_load_b64 v[42:43], v3, s[6:7] offset:48
	v_add_nc_u32_e32 v7, 0x1000, v5
	v_and_b32_e32 v12, 0xffff, v38
	v_and_b32_e32 v3, 0xffff, v34
	ds_load_2addr_b64 v[36:39], v7 offset0:48 offset1:188
	v_and_b32_e32 v2, 0xffff, v32
	v_mul_u32_u24_e32 v3, 24, v3
	v_mul_u32_u24_e32 v12, 24, v12
	v_add_nc_u32_e32 v4, 0x1800, v5
	v_add_nc_u32_e32 v26, 0x2000, v5
	;; [unrolled: 1-line block ×3, first 2 shown]
	v_or_b32_e32 v3, v3, v45
	v_or_b32_e32 v12, v12, v46
	s_delay_alu instid0(VALU_DEP_2) | instskip(NEXT) | instid1(VALU_DEP_2)
	v_mul_u32_u24_e32 v3, 0x50, v3
	v_mul_u32_u24_e32 v12, 0x50, v12
	s_delay_alu instid0(VALU_DEP_2) | instskip(NEXT) | instid1(VALU_DEP_2)
	v_add3_u32 v54, 0, v3, v1
	v_add3_u32 v12, 0, v12, v1
	s_wait_loadcnt_dscnt 0x300
	v_mul_f32_e32 v61, v15, v37
	v_mul_u32_u24_e32 v2, 24, v2
	v_mul_f32_e32 v15, v15, v36
	ds_load_2addr_b64 v[22:25], v4 offset0:72 offset1:212
	v_or_b32_e32 v2, v2, v44
	ds_load_b64 v[44:45], v6 offset:2240
	s_wait_loadcnt 0x1
	v_mul_f32_e32 v64, v39, v19
	v_mul_f32_e32 v19, v38, v19
	ds_load_2addr_b64 v[26:29], v26 offset0:96 offset1:236
	v_mul_u32_u24_e32 v2, 0x50, v2
	v_fmac_f32_e32 v19, v39, v18
	s_delay_alu instid0(VALU_DEP_2)
	v_add3_u32 v53, 0, v2, v1
	ds_load_b64 v[46:47], v5
	ds_load_2addr_b64 v[1:4], v32 offset0:56 offset1:196
	ds_load_b32 v32, v6
	ds_load_b64 v[48:49], v6
	ds_load_b32 v55, v6 offset:4
	ds_load_b32 v56, v6 offset:1120
	;; [unrolled: 1-line block ×3, first 2 shown]
	ds_load_b64 v[50:51], v6 offset:1120
	global_wb scope:SCOPE_SE
	s_wait_loadcnt_dscnt 0x0
	s_barrier_signal -1
	s_barrier_wait -1
	global_inv scope:SCOPE_SE
	v_mul_f32_e32 v59, v11, v23
	v_dual_mul_f32 v11, v11, v22 :: v_dual_add_nc_u32 v34, 0xf00, v5
	v_mul_f32_e32 v62, v17, v25
	v_mul_f32_e32 v58, v9, v45
	;; [unrolled: 1-line block ×3, first 2 shown]
	s_delay_alu instid0(VALU_DEP_4)
	v_fmac_f32_e32 v11, v10, v23
	v_mul_f32_e32 v17, v17, v24
	v_mul_f32_e32 v63, v2, v41
	v_dual_mul_f32 v41, v1, v41 :: v_dual_mul_f32 v66, v4, v43
	v_mul_f32_e32 v43, v3, v43
	v_mul_f32_e32 v60, v31, v29
	;; [unrolled: 1-line block ×3, first 2 shown]
	v_fma_f32 v44, v8, v44, -v58
	v_fmac_f32_e32 v9, v8, v45
	v_fma_f32 v8, v10, v22, -v59
	v_fmac_f32_e32 v43, v4, v42
	v_fma_f32 v10, v30, v28, -v60
	v_dual_fmac_f32 v41, v2, v40 :: v_dual_add_nc_u32 v52, 0x1e00, v5
	v_fmac_f32_e32 v31, v30, v29
	v_fma_f32 v22, v14, v36, -v61
	s_delay_alu instid0(VALU_DEP_4)
	v_dual_sub_f32 v4, v44, v10 :: v_dual_fmac_f32 v15, v14, v37
	v_fma_f32 v14, v16, v24, -v62
	v_mul_f32_e32 v65, v27, v21
	v_mul_f32_e32 v21, v26, v21
	v_fma_f32 v2, v38, v18, -v64
	v_sub_f32_e32 v18, v46, v8
	v_dual_sub_f32 v8, v9, v31 :: v_dual_sub_f32 v23, v48, v14
	v_sub_f32_e32 v10, v15, v41
	v_fmac_f32_e32 v17, v16, v25
	v_fma_f32 v1, v1, v40, -v63
	v_fma_f32 v3, v3, v42, -v66
	;; [unrolled: 1-line block ×3, first 2 shown]
	v_sub_f32_e32 v36, v23, v10
	v_dual_fmac_f32 v21, v27, v20 :: v_dual_sub_f32 v24, v49, v17
	v_sub_f32_e32 v20, v47, v11
	v_sub_f32_e32 v11, v2, v3
	v_fma_f32 v26, v46, 2.0, -v18
	v_fma_f32 v14, v44, 2.0, -v4
	v_sub_f32_e32 v21, v51, v21
	v_sub_f32_e32 v1, v22, v1
	;; [unrolled: 1-line block ×3, first 2 shown]
	v_fma_f32 v27, v47, 2.0, -v20
	v_fma_f32 v28, v32, 2.0, -v23
	v_sub_f32_e32 v25, v50, v16
	v_fma_f32 v16, v9, 2.0, -v8
	v_dual_add_f32 v9, v20, v4 :: v_dual_add_f32 v4, v21, v11
	v_fma_f32 v17, v22, 2.0, -v1
	v_fma_f32 v29, v55, 2.0, -v24
	;; [unrolled: 1-line block ×3, first 2 shown]
	v_add_f32_e32 v37, v24, v1
	v_fma_f32 v1, v2, 2.0, -v11
	v_fma_f32 v2, v19, 2.0, -v3
	v_sub_f32_e32 v10, v26, v14
	v_fma_f32 v31, v57, 2.0, -v21
	v_dual_sub_f32 v11, v27, v16 :: v_dual_sub_f32 v16, v28, v17
	v_fma_f32 v30, v56, 2.0, -v25
	v_dual_sub_f32 v8, v18, v8 :: v_dual_sub_f32 v17, v29, v22
	s_delay_alu instid0(VALU_DEP_4) | instskip(NEXT) | instid1(VALU_DEP_3)
	v_dual_sub_f32 v3, v25, v3 :: v_dual_sub_f32 v2, v31, v2
	v_sub_f32_e32 v1, v30, v1
	s_delay_alu instid0(VALU_DEP_3)
	v_fma_f32 v14, v18, 2.0, -v8
	v_fma_f32 v15, v20, 2.0, -v9
	;; [unrolled: 1-line block ×12, first 2 shown]
	ds_store_2addr_b64 v53, v[10:11], v[8:9] offset0:120 offset1:180
	ds_store_2addr_b64 v53, v[20:21], v[14:15] offset1:60
	ds_store_2addr_b64 v54, v[22:23], v[18:19] offset1:60
	ds_store_2addr_b64 v54, v[16:17], v[36:37] offset0:120 offset1:180
	ds_store_2addr_b64 v12, v[70:71], v[58:59] offset1:60
	ds_store_2addr_b64 v12, v[1:2], v[3:4] offset0:120 offset1:180
	global_wb scope:SCOPE_SE
	s_wait_dscnt 0x0
	s_barrier_signal -1
	s_barrier_wait -1
	global_inv scope:SCOPE_SE
	ds_load_2addr_b64 v[9:12], v5 offset1:240
	ds_load_2addr_b64 v[29:32], v34 offset1:240
	;; [unrolled: 1-line block ×3, first 2 shown]
	ds_load_b64 v[84:85], v5 offset:11520
                                        ; implicit-def: $vgpr8
	v_cmpx_gt_u32_e32 0x64, v0
	s_cbranch_execz .LBB0_28
; %bb.27:
	v_add_nc_u32_e32 v1, 0x1a80, v5
	v_add_nc_u32_e32 v8, 0x2980, v5
	ds_load_2addr_b32 v[36:37], v6 offset1:1
	ds_load_b64 v[70:71], v5 offset:3040
	ds_load_2addr_b32 v[58:59], v7 offset0:216 offset1:217
	ds_load_2addr_b64 v[1:4], v1 offset0:12 offset1:252
	ds_load_2addr_b64 v[5:8], v8 offset0:12 offset1:252
.LBB0_28:
	s_wait_alu 0xfffe
	s_or_b32 exec_lo, exec_lo, s11
	v_lshrrev_b16 v88, 10, v13
	s_load_b64 s[0:1], s[0:1], 0x8
	s_delay_alu instid0(VALU_DEP_1) | instskip(NEXT) | instid1(VALU_DEP_1)
	v_mul_lo_u16 v13, v88, 24
	v_sub_nc_u16 v13, v86, v13
	s_delay_alu instid0(VALU_DEP_1) | instskip(NEXT) | instid1(VALU_DEP_1)
	v_and_b32_e32 v34, 0xff, v13
	v_add_nc_u32_e32 v15, 24, v34
	v_mul_lo_u32 v14, v33, v34
	v_add_nc_u32_e32 v16, 48, v34
	v_add_nc_u32_e32 v17, 0x48, v34
	v_mul_u32_u24_e32 v13, 6, v34
	v_mul_lo_u32 v40, v33, v15
	v_or_b32_e32 v38, 0x60, v34
	v_mul_lo_u32 v41, v33, v16
	v_add_nc_u32_e32 v39, 0x78, v34
	v_and_b32_e32 v43, 0xff, v14
	v_lshrrev_b32_e32 v44, 5, v14
	v_mul_lo_u32 v42, v33, v17
	v_lshrrev_b32_e32 v45, 13, v14
	v_and_b32_e32 v46, 0xff, v40
	v_lshrrev_b32_e32 v47, 5, v40
	v_lshrrev_b32_e32 v40, 13, v40
	v_lshlrev_b32_e32 v21, 3, v13
	v_lshlrev_b32_e32 v43, 3, v43
	v_and_b32_e32 v48, 0xff, v41
	v_lshrrev_b32_e32 v49, 5, v41
	v_mul_lo_u32 v38, v33, v38
	v_mul_lo_u32 v39, v33, v39
	v_and_b32_e32 v44, 0x7f8, v44
	v_and_b32_e32 v45, 0x7f8, v45
	v_lshlrev_b32_e32 v46, 3, v46
	v_add_nc_u32_e32 v34, 0x90, v34
	v_lshrrev_b32_e32 v41, 13, v41
	v_and_b32_e32 v47, 0x7f8, v47
	v_and_b32_e32 v40, 0x7f8, v40
	s_clause 0x2
	global_load_b128 v[13:16], v21, s[6:7] offset:208
	global_load_b128 v[17:20], v21, s[6:7] offset:192
	;; [unrolled: 1-line block ×3, first 2 shown]
	v_lshlrev_b32_e32 v48, 3, v48
	v_and_b32_e32 v49, 0x7f8, v49
	s_wait_kmcnt 0x0
	s_clause 0x7
	global_load_b64 v[80:81], v43, s[0:1]
	global_load_b64 v[82:83], v44, s[0:1] offset:2048
	global_load_b64 v[78:79], v45, s[0:1] offset:4096
	global_load_b64 v[74:75], v46, s[0:1]
	global_load_b64 v[76:77], v47, s[0:1] offset:2048
	global_load_b64 v[68:69], v40, s[0:1] offset:4096
	global_load_b64 v[64:65], v48, s[0:1]
	global_load_b64 v[66:67], v49, s[0:1] offset:2048
	v_and_b32_e32 v40, 0xff, v42
	v_lshrrev_b32_e32 v43, 5, v42
	v_lshrrev_b32_e32 v42, 13, v42
	v_and_b32_e32 v44, 0xff, v38
	v_lshrrev_b32_e32 v45, 5, v38
	v_lshrrev_b32_e32 v38, 13, v38
	v_and_b32_e32 v46, 0xff, v39
	v_mul_lo_u32 v34, v33, v34
	v_and_b32_e32 v41, 0x7f8, v41
	v_lshlrev_b32_e32 v40, 3, v40
	v_and_b32_e32 v43, 0x7f8, v43
	v_and_b32_e32 v42, 0x7f8, v42
	v_lshlrev_b32_e32 v44, 3, v44
	v_and_b32_e32 v38, 0x7f8, v38
	v_lshlrev_b32_e32 v46, 3, v46
	v_and_b32_e32 v45, 0x7f8, v45
	s_clause 0x7
	global_load_b64 v[72:73], v41, s[0:1] offset:4096
	global_load_b64 v[60:61], v40, s[0:1]
	global_load_b64 v[62:63], v43, s[0:1] offset:2048
	global_load_b64 v[52:53], v42, s[0:1] offset:4096
	global_load_b64 v[54:55], v44, s[0:1]
	global_load_b64 v[56:57], v45, s[0:1] offset:2048
	global_load_b64 v[48:49], v38, s[0:1] offset:4096
	global_load_b64 v[46:47], v46, s[0:1]
	v_lshrrev_b32_e32 v38, 5, v39
	v_lshrrev_b32_e32 v39, 13, v39
	v_and_b32_e32 v40, 0xff, v34
	v_lshrrev_b32_e32 v41, 5, v34
	v_lshrrev_b32_e32 v34, 13, v34
	v_and_b32_e32 v38, 0x7f8, v38
	v_and_b32_e32 v39, 0x7f8, v39
	v_lshlrev_b32_e32 v42, 3, v40
	v_and_b32_e32 v44, 0x7f8, v41
	v_and_b32_e32 v34, 0x7f8, v34
	s_clause 0x4
	global_load_b64 v[50:51], v38, s[0:1] offset:2048
	global_load_b64 v[40:41], v39, s[0:1] offset:4096
	global_load_b64 v[42:43], v42, s[0:1]
	global_load_b64 v[44:45], v44, s[0:1] offset:2048
	global_load_b64 v[38:39], v34, s[0:1] offset:4096
	v_add_nc_u32_e32 v34, s10, v35
	s_and_saveexec_b32 s2, s3
	s_cbranch_execz .LBB0_30
; %bb.29:
	v_mul_lo_u16 v35, v87, 11
	s_delay_alu instid0(VALU_DEP_1) | instskip(NEXT) | instid1(VALU_DEP_1)
	v_lshrrev_b16 v35, 8, v35
	v_mul_lo_u16 v35, v35, 24
	s_delay_alu instid0(VALU_DEP_1) | instskip(NEXT) | instid1(VALU_DEP_1)
	v_sub_nc_u16 v35, v87, v35
	v_and_b32_e32 v35, 0xff, v35
	s_delay_alu instid0(VALU_DEP_1)
	v_mul_u32_u24_e32 v87, 6, v35
	v_add_nc_u32_e32 v89, 0x90, v35
	v_add_nc_u32_e32 v90, 0x78, v35
	v_or_b32_e32 v93, 0x60, v35
	v_mul_lo_u32 v129, v33, v35
	v_lshlrev_b32_e32 v87, 3, v87
	v_mul_lo_u32 v131, v33, v89
	v_mul_lo_u32 v132, v33, v90
	;; [unrolled: 1-line block ×3, first 2 shown]
	v_add_nc_u32_e32 v101, 0x48, v35
	s_clause 0x2
	global_load_b128 v[89:92], v87, s[6:7] offset:192
	global_load_b128 v[93:96], v87, s[6:7] offset:176
	;; [unrolled: 1-line block ×3, first 2 shown]
	v_add_nc_u32_e32 v102, 48, v35
	v_add_nc_u32_e32 v103, 24, v35
	v_mul_lo_u32 v87, v33, v101
	v_and_b32_e32 v101, 0xff, v129
	v_and_b32_e32 v105, 0xff, v131
	v_mul_lo_u32 v134, v33, v102
	v_lshrrev_b32_e32 v102, 5, v129
	v_mul_lo_u32 v33, v33, v103
	v_lshlrev_b32_e32 v103, 3, v101
	v_and_b32_e32 v109, 0xff, v133
	v_and_b32_e32 v111, 0xff, v87
	;; [unrolled: 1-line block ×3, first 2 shown]
	v_lshlrev_b32_e32 v105, 3, v105
	v_lshrrev_b32_e32 v114, 5, v134
	v_lshrrev_b32_e32 v106, 5, v131
	v_and_b32_e32 v115, 0xff, v33
	v_lshrrev_b32_e32 v116, 5, v33
	v_lshlrev_b32_e32 v122, 3, v111
	v_and_b32_e32 v107, 0xff, v132
	v_lshrrev_b32_e32 v108, 5, v132
	v_lshrrev_b32_e32 v110, 5, v133
	;; [unrolled: 1-line block ×3, first 2 shown]
	v_and_b32_e32 v113, 0xff, v134
	v_and_b32_e32 v117, 0x7f8, v106
	v_lshlrev_b32_e32 v118, 3, v107
	v_and_b32_e32 v119, 0x7f8, v108
	v_and_b32_e32 v123, 0x7f8, v112
	v_lshrrev_b32_e32 v129, 13, v129
	v_lshrrev_b32_e32 v132, 13, v132
	;; [unrolled: 1-line block ×6, first 2 shown]
	v_and_b32_e32 v132, 0x7f8, v132
	v_lshrrev_b32_e32 v136, 13, v134
	s_wait_loadcnt_dscnt 0x103
	v_dual_mul_f32 v158, v94, v12 :: v_dual_and_b32 v137, 0x7f8, v133
	s_wait_loadcnt_dscnt 0x1
	v_mul_f32_e32 v157, v98, v28
	v_mul_f32_e32 v98, v98, v27
	s_clause 0x1
	global_load_b64 v[101:102], v102, s[0:1] offset:2048
	global_load_b64 v[103:104], v103, s[0:1]
	s_wait_dscnt 0x0
	v_dual_mul_f32 v159, v100, v85 :: v_dual_mul_f32 v94, v94, v11
	v_dual_mul_f32 v100, v100, v84 :: v_dual_and_b32 v125, 0x7f8, v114
	v_and_b32_e32 v127, 0x7f8, v116
	v_lshlrev_b32_e32 v120, 3, v109
	s_delay_alu instid0(VALU_DEP_4) | instskip(NEXT) | instid1(VALU_DEP_4)
	v_fmac_f32_e32 v94, v93, v12
	v_dual_fmac_f32 v100, v99, v85 :: v_dual_and_b32 v121, 0x7f8, v110
	v_fmac_f32_e32 v98, v97, v28
	v_lshlrev_b32_e32 v124, 3, v113
	v_fma_f32 v11, v93, v11, -v158
	s_delay_alu instid0(VALU_DEP_4)
	v_dual_add_f32 v85, v94, v100 :: v_dual_lshlrev_b32 v126, 3, v115
	s_clause 0xb
	global_load_b64 v[105:106], v105, s[0:1]
	global_load_b64 v[107:108], v117, s[0:1] offset:2048
	global_load_b64 v[109:110], v118, s[0:1]
	global_load_b64 v[111:112], v119, s[0:1] offset:2048
	global_load_b64 v[113:114], v120, s[0:1]
	global_load_b64 v[115:116], v121, s[0:1] offset:2048
	global_load_b64 v[117:118], v122, s[0:1]
	global_load_b64 v[119:120], v123, s[0:1] offset:2048
	global_load_b64 v[121:122], v124, s[0:1]
	global_load_b64 v[123:124], v125, s[0:1] offset:2048
	global_load_b64 v[125:126], v126, s[0:1]
	global_load_b64 v[127:128], v127, s[0:1] offset:2048
	v_and_b32_e32 v129, 0x7f8, v129
	v_and_b32_e32 v135, 0x7f8, v131
	;; [unrolled: 1-line block ×3, first 2 shown]
	v_fma_f32 v27, v97, v27, -v157
	v_and_b32_e32 v33, 0x7f8, v33
	s_wait_loadcnt 0xc
	v_dual_mul_f32 v12, v104, v102 :: v_dual_and_b32 v141, 0x7f8, v136
	global_load_b64 v[129:130], v129, s[0:1] offset:4096
	v_mul_f32_e32 v28, v103, v102
	s_clause 0x5
	global_load_b64 v[131:132], v132, s[0:1] offset:4096
	global_load_b64 v[133:134], v135, s[0:1] offset:4096
	;; [unrolled: 1-line block ×6, first 2 shown]
	v_and_b32_e32 v33, 0xffff, v0
	v_fma_f32 v12, v103, v101, -v12
	v_fmac_f32_e32 v28, v101, v104
	s_delay_alu instid0(VALU_DEP_3) | instskip(NEXT) | instid1(VALU_DEP_1)
	v_mul_u32_u24_e32 v33, 0x112, v33
	v_lshrrev_b32_e32 v33, 16, v33
	s_delay_alu instid0(VALU_DEP_1) | instskip(NEXT) | instid1(VALU_DEP_1)
	v_mul_lo_u16 v33, 0xa8, v33
	v_and_b32_e32 v33, 0xffff, v33
	s_delay_alu instid0(VALU_DEP_1) | instskip(NEXT) | instid1(VALU_DEP_1)
	v_add_nc_u32_e32 v33, v35, v33
	v_mad_co_u64_u32 v[143:144], null, s8, v33, v[34:35]
	v_add_nc_u32_e32 v35, 24, v33
	v_add_nc_u32_e32 v87, 48, v33
	;; [unrolled: 1-line block ×6, first 2 shown]
	v_mad_co_u64_u32 v[147:148], null, s8, v87, v[34:35]
	v_mul_f32_e32 v87, v96, v30
	v_mul_f32_e32 v96, v96, v29
	s_delay_alu instid0(VALU_DEP_4) | instskip(SKIP_2) | instid1(VALU_DEP_4)
	v_mad_co_u64_u32 v[155:156], null, s8, v33, v[34:35]
	v_mul_f32_e32 v33, v92, v26
	v_mul_f32_e32 v92, v92, v25
	v_fmac_f32_e32 v96, v95, v30
	v_mad_co_u64_u32 v[145:146], null, s8, v35, v[34:35]
	v_mad_co_u64_u32 v[151:152], null, s8, v151, v[34:35]
	s_delay_alu instid0(VALU_DEP_4) | instskip(SKIP_4) | instid1(VALU_DEP_3)
	v_fmac_f32_e32 v92, v91, v26
	v_fma_f32 v26, v95, v29, -v87
	v_fma_f32 v29, v99, v84, -v159
	v_mad_co_u64_u32 v[153:154], null, s8, v153, v[34:35]
	v_fma_f32 v25, v91, v25, -v33
	v_dual_add_f32 v84, v96, v98 :: v_dual_sub_f32 v33, v11, v29
	v_add_f32_e32 v11, v11, v29
	s_wait_loadcnt 0x7
	v_dual_sub_f32 v29, v96, v98 :: v_dual_mul_f32 v98, v126, v128
	v_mad_co_u64_u32 v[149:150], null, s8, v149, v[34:35]
	v_mul_f32_e32 v35, v90, v32
	v_dual_mul_f32 v90, v90, v31 :: v_dual_mul_f32 v93, v113, v116
	v_mul_f32_e32 v96, v122, v124
	v_add_f32_e32 v104, v84, v85
	s_delay_alu instid0(VALU_DEP_4) | instskip(NEXT) | instid1(VALU_DEP_4)
	v_fma_f32 v31, v89, v31, -v35
	v_fmac_f32_e32 v90, v89, v32
	v_sub_f32_e32 v32, v26, v27
	v_dual_add_f32 v26, v26, v27 :: v_dual_mul_f32 v91, v109, v112
	s_delay_alu instid0(VALU_DEP_4) | instskip(SKIP_3) | instid1(VALU_DEP_4)
	v_dual_sub_f32 v30, v25, v31 :: v_dual_add_f32 v25, v31, v25
	v_sub_f32_e32 v31, v94, v100
	v_add_f32_e32 v35, v90, v92
	v_mul_f32_e32 v94, v118, v120
	v_add_f32_e32 v100, v30, v32
	v_dual_sub_f32 v101, v30, v32 :: v_dual_sub_f32 v30, v33, v30
	v_dual_sub_f32 v27, v92, v90 :: v_dual_mul_f32 v90, v110, v112
	v_sub_f32_e32 v112, v11, v25
	v_mul_f32_e32 v92, v114, v116
	v_add_f32_e32 v116, v26, v11
	v_mul_f32_e32 v87, v106, v108
	v_mul_f32_e32 v89, v105, v108
	v_dual_sub_f32 v108, v25, v26 :: v_dual_sub_f32 v11, v26, v11
	v_sub_f32_e32 v26, v29, v31
	v_dual_mul_f32 v95, v117, v120 :: v_dual_sub_f32 v32, v32, v33
	v_add_f32_e32 v33, v100, v33
	v_mul_f32_e32 v100, 0xbf08b237, v101
	s_delay_alu instid0(VALU_DEP_3) | instskip(SKIP_3) | instid1(VALU_DEP_3)
	v_dual_sub_f32 v102, v35, v84 :: v_dual_fmac_f32 v95, v118, v119
	v_dual_mul_f32 v97, v121, v124 :: v_dual_sub_f32 v124, v27, v29
	v_dual_sub_f32 v103, v85, v35 :: v_dual_add_f32 v120, v27, v29
	v_dual_sub_f32 v27, v31, v27 :: v_dual_sub_f32 v84, v84, v85
	v_dual_fmac_f32 v89, v106, v107 :: v_dual_mul_f32 v106, 0xbf08b237, v124
	v_fma_f32 v85, v109, v111, -v90
	v_fma_f32 v90, v117, v119, -v94
	;; [unrolled: 1-line block ×4, first 2 shown]
	v_mul_f32_e32 v99, v125, v128
	v_fmac_f32_e32 v91, v110, v111
	v_fma_f32 v87, v113, v115, -v92
	v_fma_f32 v92, v121, v123, -v96
	v_mov_b32_e32 v144, 0
	s_delay_alu instid0(VALU_DEP_1)
	v_mov_b32_e32 v146, v144
	v_mov_b32_e32 v148, v144
	;; [unrolled: 1-line block ×6, first 2 shown]
	v_lshlrev_b64_e32 v[143:144], 3, v[143:144]
	v_lshlrev_b64_e32 v[145:146], 3, v[145:146]
	;; [unrolled: 1-line block ×6, first 2 shown]
	v_add_co_u32 v143, s0, s4, v143
	s_delay_alu instid0(VALU_DEP_1)
	v_add_co_ci_u32_e64 v144, s0, s5, v144, s0
	v_add_co_u32 v145, s0, s4, v145
	s_wait_alu 0xf1ff
	v_add_co_ci_u32_e64 v146, s0, s5, v146, s0
	v_add_co_u32 v147, s0, s4, v147
	s_wait_alu 0xf1ff
	v_add_co_ci_u32_e64 v148, s0, s5, v148, s0
	v_add_co_u32 v149, s0, s4, v149
	s_wait_alu 0xf1ff
	v_add_co_ci_u32_e64 v150, s0, s5, v150, s0
	v_lshlrev_b64_e32 v[155:156], 3, v[155:156]
	v_add_co_u32 v151, s0, s4, v151
	s_wait_alu 0xf1ff
	v_add_co_ci_u32_e64 v152, s0, s5, v152, s0
	v_add_co_u32 v153, s0, s4, v153
	s_wait_alu 0xf1ff
	v_add_co_ci_u32_e64 v154, s0, s5, v154, s0
	;; [unrolled: 3-line block ×3, first 2 shown]
	s_wait_loadcnt 0x6
	v_mul_f32_e32 v98, v130, v12
	v_add_f32_e32 v25, v25, v116
	v_mul_f32_e32 v96, v130, v28
	s_wait_loadcnt 0x4
	v_dual_mul_f32 v110, v89, v134 :: v_dual_fmac_f32 v93, v114, v115
	v_fmac_f32_e32 v98, v129, v28
	v_add_f32_e32 v9, v25, v9
	v_mul_f32_e32 v105, 0x3f4a47b2, v112
	v_add_f32_e32 v35, v35, v104
	v_mul_f32_e32 v104, 0x3d64c772, v108
	v_mul_f32_e32 v112, v91, v132
	s_wait_loadcnt 0x3
	v_mul_f32_e32 v114, v93, v136
	v_fmamk_f32 v108, v108, 0x3d64c772, v105
	v_mul_f32_e32 v103, 0x3f4a47b2, v103
	v_mul_f32_e32 v101, 0x3d64c772, v102
	s_wait_loadcnt 0x2
	v_mul_f32_e32 v116, v95, v138
	v_fma_f32 v12, v129, v12, -v96
	v_fmamk_f32 v28, v30, 0x3eae86e6, v100
	v_fmamk_f32 v96, v102, 0x3d64c772, v103
	v_fmac_f32_e32 v99, v126, v127
	v_fmac_f32_e32 v97, v122, v123
	s_delay_alu instid0(VALU_DEP_4)
	v_dual_add_f32 v31, v120, v31 :: v_dual_fmac_f32 v28, 0x3ee1c552, v33
	v_add_f32_e32 v102, v35, v10
	v_fmamk_f32 v122, v27, 0x3eae86e6, v106
	v_fmamk_f32 v25, v25, 0xbf955555, v9
	v_mul_f32_e32 v10, v9, v98
	v_fma_f32 v105, 0xbf3bfb3b, v11, -v105
	v_mul_f32_e32 v109, 0x3f5ff5aa, v26
	v_fma_f32 v26, 0x3f5ff5aa, v26, -v106
	v_fma_f32 v11, 0x3f3bfb3b, v11, -v104
	v_mul_f32_e32 v107, 0x3f5ff5aa, v32
	v_dual_mul_f32 v111, v29, v134 :: v_dual_fmac_f32 v122, 0x3ee1c552, v31
	s_delay_alu instid0(VALU_DEP_4)
	v_dual_mul_f32 v117, v90, v138 :: v_dual_fmac_f32 v26, 0x3ee1c552, v31
	s_wait_loadcnt 0x0
	v_dual_mul_f32 v119, v92, v142 :: v_dual_fmac_f32 v10, v102, v12
	v_mul_f32_e32 v120, v99, v140
	v_mul_f32_e32 v118, v97, v142
	v_fma_f32 v32, 0x3f5ff5aa, v32, -v100
	v_mul_f32_e32 v115, v87, v136
	v_fma_f32 v87, v135, v87, -v114
	v_add_f32_e32 v11, v11, v25
	v_fma_f32 v103, 0xbf3bfb3b, v84, -v103
	v_fmac_f32_e32 v111, v133, v89
	v_fma_f32 v89, v137, v90, -v116
	v_fma_f32 v90, v141, v92, -v118
	v_fmac_f32_e32 v119, v141, v97
	v_fmac_f32_e32 v32, 0x3ee1c552, v33
	;; [unrolled: 1-line block ×3, first 2 shown]
	v_add_f32_e32 v92, v108, v25
	v_fma_f32 v30, 0xbeae86e6, v30, -v107
	v_mul_f32_e32 v113, v85, v132
	v_add_f32_e32 v97, v26, v11
	v_fmamk_f32 v35, v35, 0xbf955555, v102
	v_mul_f32_e32 v121, v94, v140
	v_fma_f32 v84, 0x3f3bfb3b, v84, -v101
	v_fma_f32 v85, v131, v85, -v112
	s_delay_alu instid0(VALU_DEP_4)
	v_dual_fmac_f32 v30, 0x3ee1c552, v33 :: v_dual_add_f32 v93, v103, v35
	v_fmac_f32_e32 v113, v131, v91
	v_fma_f32 v91, v139, v94, -v120
	v_add_f32_e32 v94, v105, v25
	v_fma_f32 v27, 0xbeae86e6, v27, -v109
	v_fma_f32 v29, v133, v29, -v110
	v_add_f32_e32 v33, v96, v35
	v_dual_add_f32 v35, v84, v35 :: v_dual_add_f32 v84, v30, v93
	s_delay_alu instid0(VALU_DEP_4) | instskip(SKIP_1) | instid1(VALU_DEP_3)
	v_fmac_f32_e32 v27, 0x3ee1c552, v31
	v_fmac_f32_e32 v117, v137, v95
	v_dual_sub_f32 v93, v93, v30 :: v_dual_sub_f32 v96, v35, v32
	v_sub_f32_e32 v11, v11, v26
	s_delay_alu instid0(VALU_DEP_4) | instskip(SKIP_1) | instid1(VALU_DEP_4)
	v_sub_f32_e32 v95, v94, v27
	v_add_f32_e32 v27, v27, v94
	v_dual_mul_f32 v31, v102, v98 :: v_dual_mul_f32 v100, v93, v119
	v_mul_f32_e32 v98, v96, v115
	v_mul_f32_e32 v94, v84, v113
	s_delay_alu instid0(VALU_DEP_4) | instskip(NEXT) | instid1(VALU_DEP_4)
	v_mul_f32_e32 v30, v27, v119
	v_fma_f32 v9, v9, v12, -v31
	v_mul_f32_e32 v12, v95, v113
	v_mul_f32_e32 v26, v97, v115
	s_delay_alu instid0(VALU_DEP_4)
	v_dual_fmac_f32 v30, v93, v90 :: v_dual_add_f32 v35, v32, v35
	v_dual_sub_f32 v31, v92, v122 :: v_dual_add_f32 v92, v122, v92
	global_store_b64 v[143:144], v[9:10], off
	v_fmac_f32_e32 v26, v96, v87
	v_fmac_f32_e32 v12, v84, v85
	v_mul_f32_e32 v10, v31, v111
	v_fmac_f32_e32 v121, v139, v99
	v_mul_f32_e32 v99, v35, v117
	s_delay_alu instid0(VALU_DEP_2) | instskip(SKIP_1) | instid1(VALU_DEP_1)
	v_mul_f32_e32 v32, v92, v121
	v_add_f32_e32 v25, v28, v33
	v_fmac_f32_e32 v10, v25, v29
	v_dual_sub_f32 v33, v33, v28 :: v_dual_mul_f32 v28, v11, v117
	s_delay_alu instid0(VALU_DEP_1) | instskip(SKIP_2) | instid1(VALU_DEP_4)
	v_fmac_f32_e32 v32, v33, v91
	v_mul_f32_e32 v9, v25, v111
	v_mul_f32_e32 v101, v33, v121
	v_fmac_f32_e32 v28, v35, v89
	v_fma_f32 v25, v97, v87, -v98
	s_delay_alu instid0(VALU_DEP_4) | instskip(NEXT) | instid1(VALU_DEP_4)
	v_fma_f32 v9, v31, v29, -v9
	v_fma_f32 v31, v92, v91, -v101
	;; [unrolled: 1-line block ×5, first 2 shown]
	s_clause 0x5
	global_store_b64 v[145:146], v[31:32], off
	global_store_b64 v[147:148], v[29:30], off
	;; [unrolled: 1-line block ×6, first 2 shown]
.LBB0_30:
	s_wait_alu 0xfffe
	s_or_b32 exec_lo, exec_lo, s2
	v_cmp_gt_u32_e64 s1, 0x64, v0
	v_cmp_lt_u32_e64 s0, 0x63, v0
	s_wait_dscnt 0x3
	v_cndmask_b32_e64 v9, 0, 1, vcc_lo
	s_wait_alu 0xf1ff
	v_cndmask_b32_e64 v0, 0, 1, s1
	s_or_b32 vcc_lo, s0, s9
	s_mov_b32 s0, exec_lo
	s_wait_alu 0xfffe
	s_delay_alu instid0(VALU_DEP_1) | instskip(NEXT) | instid1(VALU_DEP_1)
	v_cndmask_b32_e32 v0, v9, v0, vcc_lo
	v_and_b32_e32 v0, 1, v0
	s_delay_alu instid0(VALU_DEP_1)
	v_cmpx_eq_u32_e32 1, v0
	s_cbranch_execz .LBB0_32
; %bb.31:
	s_wait_loadcnt_dscnt 0x1502
	v_dual_mul_f32 v9, v70, v22 :: v_dual_mul_f32 v10, v59, v24
	v_dual_mul_f32 v0, v71, v22 :: v_dual_mul_f32 v11, v58, v24
	s_wait_dscnt 0x1
	s_delay_alu instid0(VALU_DEP_2) | instskip(SKIP_1) | instid1(VALU_DEP_3)
	v_dual_mul_f32 v12, v2, v18 :: v_dual_fmac_f32 v9, v71, v21
	v_mul_f32_e32 v18, v1, v18
	v_fma_f32 v0, v70, v21, -v0
	v_mul_f32_e32 v21, v4, v20
	v_fmac_f32_e32 v11, v59, v23
	v_fma_f32 v1, v1, v17, -v12
	v_fmac_f32_e32 v18, v2, v17
	s_wait_dscnt 0x0
	v_dual_mul_f32 v12, v8, v16 :: v_dual_mul_f32 v17, v6, v14
	v_fma_f32 v2, v3, v19, -v21
	v_dual_mul_f32 v3, v3, v20 :: v_dual_mul_f32 v14, v5, v14
	v_mul_f32_e32 v16, v7, v16
	s_delay_alu instid0(VALU_DEP_4) | instskip(SKIP_1) | instid1(VALU_DEP_4)
	v_fma_f32 v7, v7, v15, -v12
	v_fma_f32 v10, v58, v23, -v10
	v_fmac_f32_e32 v3, v4, v19
	v_fma_f32 v4, v5, v13, -v17
	s_delay_alu instid0(VALU_DEP_4) | instskip(SKIP_2) | instid1(VALU_DEP_4)
	v_dual_fmac_f32 v14, v6, v13 :: v_dual_add_f32 v5, v0, v7
	v_fmac_f32_e32 v16, v8, v15
	v_sub_f32_e32 v0, v0, v7
	v_add_f32_e32 v8, v10, v4
	v_sub_f32_e32 v4, v10, v4
	v_sub_f32_e32 v10, v11, v14
	v_add_f32_e32 v6, v9, v16
	v_sub_f32_e32 v7, v9, v16
	v_add_f32_e32 v9, v11, v14
	v_add_f32_e32 v11, v1, v2
	v_sub_f32_e32 v1, v2, v1
	v_add_f32_e32 v12, v18, v3
	v_dual_sub_f32 v2, v3, v18 :: v_dual_add_f32 v3, v8, v5
	v_dual_add_f32 v13, v9, v6 :: v_dual_sub_f32 v14, v8, v5
	v_sub_f32_e32 v15, v9, v6
	v_sub_f32_e32 v5, v5, v11
	v_dual_sub_f32 v9, v12, v9 :: v_dual_sub_f32 v8, v11, v8
	v_dual_add_f32 v17, v2, v10 :: v_dual_add_f32 v16, v1, v4
	v_dual_sub_f32 v19, v2, v10 :: v_dual_sub_f32 v18, v1, v4
	v_add_f32_e32 v3, v11, v3
	v_dual_sub_f32 v2, v7, v2 :: v_dual_add_f32 v11, v12, v13
	v_dual_sub_f32 v6, v6, v12 :: v_dual_sub_f32 v1, v0, v1
	v_sub_f32_e32 v4, v4, v0
	s_delay_alu instid0(VALU_DEP_3)
	v_dual_add_f32 v0, v16, v0 :: v_dual_add_f32 v13, v37, v11
	v_add_f32_e32 v12, v36, v3
	v_dual_sub_f32 v10, v10, v7 :: v_dual_mul_f32 v5, 0x3f4a47b2, v5
	v_add_f32_e32 v7, v17, v7
	v_mul_f32_e32 v17, 0x3d64c772, v9
	v_dual_mul_f32 v18, 0xbf08b237, v18 :: v_dual_mul_f32 v19, 0xbf08b237, v19
	s_delay_alu instid0(VALU_DEP_4)
	v_dual_mul_f32 v20, 0x3f5ff5aa, v4 :: v_dual_mul_f32 v21, 0x3f5ff5aa, v10
	v_fmamk_f32 v3, v3, 0xbf955555, v12
	v_fmamk_f32 v11, v11, 0xbf955555, v13
	v_mul_f32_e32 v6, 0x3f4a47b2, v6
	v_mul_f32_e32 v16, 0x3d64c772, v8
	v_fma_f32 v17, 0x3f3bfb3b, v15, -v17
	v_fmamk_f32 v8, v8, 0x3d64c772, v5
	v_fma_f32 v5, 0xbf3bfb3b, v14, -v5
	v_fmamk_f32 v9, v9, 0x3d64c772, v6
	;; [unrolled: 2-line block ×3, first 2 shown]
	v_fma_f32 v4, 0x3f5ff5aa, v4, -v18
	v_fma_f32 v10, 0x3f5ff5aa, v10, -v19
	;; [unrolled: 1-line block ×3, first 2 shown]
	s_delay_alu instid0(VALU_DEP_4) | instskip(NEXT) | instid1(VALU_DEP_4)
	v_fmac_f32_e32 v14, 0x3ee1c552, v0
	v_fmac_f32_e32 v4, 0x3ee1c552, v0
	s_delay_alu instid0(VALU_DEP_3)
	v_dual_fmac_f32 v10, 0x3ee1c552, v7 :: v_dual_fmac_f32 v1, 0x3ee1c552, v0
	s_wait_loadcnt 0x13
	v_mul_f32_e32 v0, v81, v83
	v_add_f32_e32 v8, v8, v3
	v_add_f32_e32 v9, v9, v11
	v_fma_f32 v6, 0xbf3bfb3b, v15, -v6
	v_fmamk_f32 v15, v2, 0x3eae86e6, v19
	v_fma_f32 v2, 0xbeae86e6, v2, -v21
	v_add_f32_e32 v17, v17, v11
	v_mul_f32_e32 v19, v80, v83
	v_fma_f32 v0, v80, v82, -v0
	v_fmac_f32_e32 v15, 0x3ee1c552, v7
	v_add_f32_e32 v16, v16, v3
	v_add_f32_e32 v3, v5, v3
	v_dual_fmac_f32 v2, 0x3ee1c552, v7 :: v_dual_sub_f32 v7, v9, v14
	s_delay_alu instid0(VALU_DEP_3) | instskip(NEXT) | instid1(VALU_DEP_2)
	v_dual_add_f32 v5, v6, v11 :: v_dual_sub_f32 v20, v16, v10
	v_dual_add_f32 v6, v15, v8 :: v_dual_add_f32 v11, v2, v3
	v_add_f32_e32 v21, v4, v17
	s_delay_alu instid0(VALU_DEP_3)
	v_sub_f32_e32 v18, v5, v1
	v_dual_add_f32 v10, v10, v16 :: v_dual_fmac_f32 v19, v81, v82
	v_sub_f32_e32 v22, v3, v2
	s_wait_loadcnt 0x10
	v_dual_mul_f32 v2, v75, v77 :: v_dual_sub_f32 v23, v8, v15
	v_dual_mul_f32 v16, v0, v79 :: v_dual_sub_f32 v17, v17, v4
	v_dual_mul_f32 v3, v19, v79 :: v_dual_mul_f32 v4, v74, v77
	s_delay_alu instid0(VALU_DEP_3) | instskip(SKIP_2) | instid1(VALU_DEP_3)
	v_fma_f32 v2, v74, v76, -v2
	s_wait_loadcnt 0xd
	v_dual_add_f32 v24, v14, v9 :: v_dual_mul_f32 v9, v65, v67
	v_fmac_f32_e32 v4, v75, v76
	v_dual_fmac_f32 v16, v78, v19 :: v_dual_add_f32 v19, v1, v5
	v_fma_f32 v5, v78, v0, -v3
	v_mul_f32_e32 v3, v2, v69
	s_delay_alu instid0(VALU_DEP_4) | instskip(SKIP_1) | instid1(VALU_DEP_3)
	v_mul_f32_e32 v8, v4, v69
	v_fma_f32 v9, v64, v66, -v9
	v_fmac_f32_e32 v3, v68, v4
	v_mul_f32_e32 v0, v13, v16
	v_mul_f32_e32 v1, v12, v16
	v_fma_f32 v8, v68, v2, -v8
	s_delay_alu instid0(VALU_DEP_4) | instskip(NEXT) | instid1(VALU_DEP_3)
	v_mul_f32_e32 v2, v7, v3
	v_dual_mul_f32 v4, v64, v67 :: v_dual_fmac_f32 v1, v13, v5
	v_mul_f32_e32 v3, v6, v3
	v_fma_f32 v0, v12, v5, -v0
	s_wait_loadcnt 0xc
	v_mul_f32_e32 v5, v9, v73
	v_fmac_f32_e32 v4, v65, v66
	v_fma_f32 v2, v6, v8, -v2
	v_fmac_f32_e32 v3, v7, v8
	s_wait_loadcnt 0xa
	v_mul_f32_e32 v7, v61, v63
	v_mul_f32_e32 v8, v60, v63
	v_fmac_f32_e32 v5, v72, v4
	s_delay_alu instid0(VALU_DEP_3) | instskip(NEXT) | instid1(VALU_DEP_3)
	v_fma_f32 v7, v60, v62, -v7
	v_fmac_f32_e32 v8, v61, v62
	s_wait_loadcnt 0x9
	s_delay_alu instid0(VALU_DEP_2) | instskip(NEXT) | instid1(VALU_DEP_1)
	v_mul_f32_e32 v14, v7, v53
	v_fmac_f32_e32 v14, v52, v8
	v_mul_f32_e32 v6, v4, v73
	s_wait_loadcnt 0x7
	v_mul_f32_e32 v4, v55, v57
	v_mul_f32_e32 v12, v54, v57
	s_delay_alu instid0(VALU_DEP_3) | instskip(NEXT) | instid1(VALU_DEP_2)
	v_fma_f32 v6, v72, v9, -v6
	v_dual_mul_f32 v9, v18, v5 :: v_dual_fmac_f32 v12, v55, v56
	s_delay_alu instid0(VALU_DEP_4) | instskip(SKIP_1) | instid1(VALU_DEP_3)
	v_fma_f32 v13, v54, v56, -v4
	v_mul_f32_e32 v5, v11, v5
	v_fma_f32 v4, v11, v6, -v9
	v_mul_f32_e32 v9, v8, v53
	s_delay_alu instid0(VALU_DEP_3) | instskip(SKIP_1) | instid1(VALU_DEP_3)
	v_fmac_f32_e32 v5, v18, v6
	v_mul_f32_e32 v11, v21, v14
	v_fma_f32 v8, v52, v7, -v9
	s_wait_loadcnt 0x1
	v_dual_mul_f32 v7, v20, v14 :: v_dual_mul_f32 v14, v42, v45
	v_mul_f32_e32 v9, v12, v49
	s_delay_alu instid0(VALU_DEP_3) | instskip(SKIP_1) | instid1(VALU_DEP_4)
	v_fma_f32 v6, v20, v8, -v11
	v_mul_f32_e32 v11, v47, v51
	v_dual_fmac_f32 v14, v43, v44 :: v_dual_mul_f32 v15, v13, v49
	v_fmac_f32_e32 v7, v21, v8
	s_delay_alu instid0(VALU_DEP_2) | instskip(SKIP_1) | instid1(VALU_DEP_2)
	v_fmac_f32_e32 v15, v48, v12
	v_fma_f32 v12, v48, v13, -v9
	v_mul_f32_e32 v9, v17, v15
	s_delay_alu instid0(VALU_DEP_1) | instskip(SKIP_3) | instid1(VALU_DEP_1)
	v_fma_f32 v8, v10, v12, -v9
	v_mul_f32_e32 v9, v10, v15
	v_fma_f32 v10, v46, v50, -v11
	v_mul_f32_e32 v11, v43, v45
	v_fma_f32 v16, v42, v44, -v11
	s_wait_loadcnt 0x0
	s_delay_alu instid0(VALU_DEP_1) | instskip(NEXT) | instid1(VALU_DEP_1)
	v_dual_mul_f32 v20, v16, v39 :: v_dual_and_b32 v11, 0xffff, v88
	v_mad_u32_u24 v25, 0x90, v11, v86
	v_mul_f32_e32 v13, v46, v51
	v_dual_fmac_f32 v9, v17, v12 :: v_dual_mul_f32 v12, v10, v41
	s_delay_alu instid0(VALU_DEP_4) | instskip(NEXT) | instid1(VALU_DEP_3)
	v_fmac_f32_e32 v20, v38, v14
	v_fmac_f32_e32 v13, v47, v50
	s_delay_alu instid0(VALU_DEP_2) | instskip(NEXT) | instid1(VALU_DEP_2)
	v_mul_f32_e32 v21, v24, v20
	v_mul_f32_e32 v15, v13, v41
	v_fmac_f32_e32 v12, v40, v13
	s_delay_alu instid0(VALU_DEP_2) | instskip(SKIP_1) | instid1(VALU_DEP_3)
	v_fma_f32 v17, v40, v10, -v15
	v_mul_f32_e32 v10, v14, v39
	v_mul_f32_e32 v18, v19, v12
	;; [unrolled: 1-line block ×3, first 2 shown]
	v_mad_co_u64_u32 v[12:13], null, s8, v25, v[34:35]
	s_delay_alu instid0(VALU_DEP_4) | instskip(SKIP_1) | instid1(VALU_DEP_4)
	v_fma_f32 v26, v38, v16, -v10
	v_dual_mov_b32 v13, 0 :: v_dual_add_nc_u32 v10, 24, v25
	v_fmac_f32_e32 v11, v19, v17
	v_mul_f32_e32 v19, v23, v20
	s_delay_alu instid0(VALU_DEP_3) | instskip(NEXT) | instid1(VALU_DEP_4)
	v_mad_co_u64_u32 v[14:15], null, s8, v10, v[34:35]
	v_mov_b32_e32 v15, v13
	v_fma_f32 v10, v22, v17, -v18
	v_lshlrev_b64_e32 v[16:17], 3, v[12:13]
	v_add_nc_u32_e32 v12, 48, v25
	v_fma_f32 v18, v23, v26, -v21
	v_fmac_f32_e32 v19, v24, v26
	v_lshlrev_b64_e32 v[14:15], 3, v[14:15]
	v_add_co_u32 v16, vcc_lo, s4, v16
	s_wait_alu 0xfffd
	v_add_co_ci_u32_e32 v17, vcc_lo, s5, v17, vcc_lo
	s_delay_alu instid0(VALU_DEP_3)
	v_add_co_u32 v14, vcc_lo, s4, v14
	s_wait_alu 0xfffd
	v_add_co_ci_u32_e32 v15, vcc_lo, s5, v15, vcc_lo
	v_mad_co_u64_u32 v[20:21], null, s8, v12, v[34:35]
	v_add_nc_u32_e32 v12, 0x48, v25
	s_clause 0x1
	global_store_b64 v[16:17], v[0:1], off
	global_store_b64 v[14:15], v[2:3], off
	v_add_nc_u32_e32 v14, 0x60, v25
	v_mad_co_u64_u32 v[2:3], null, s8, v12, v[34:35]
	v_dual_mov_b32 v21, v13 :: v_dual_add_nc_u32 v12, 0x78, v25
	v_mov_b32_e32 v3, v13
	s_delay_alu instid0(VALU_DEP_4) | instskip(SKIP_1) | instid1(VALU_DEP_4)
	v_mad_co_u64_u32 v[14:15], null, s8, v14, v[34:35]
	v_mov_b32_e32 v15, v13
	v_lshlrev_b64_e32 v[0:1], 3, v[20:21]
	v_add_nc_u32_e32 v20, 0x90, v25
	v_lshlrev_b64_e32 v[2:3], 3, v[2:3]
	v_mad_co_u64_u32 v[16:17], null, s8, v12, v[34:35]
	v_lshlrev_b64_e32 v[14:15], 3, v[14:15]
	v_add_co_u32 v0, vcc_lo, s4, v0
	v_mov_b32_e32 v17, v13
	v_mad_co_u64_u32 v[20:21], null, s8, v20, v[34:35]
	s_wait_alu 0xfffd
	v_add_co_ci_u32_e32 v1, vcc_lo, s5, v1, vcc_lo
	v_add_co_u32 v2, vcc_lo, s4, v2
	v_mov_b32_e32 v21, v13
	s_wait_alu 0xfffd
	v_add_co_ci_u32_e32 v3, vcc_lo, s5, v3, vcc_lo
	v_lshlrev_b64_e32 v[16:17], 3, v[16:17]
	v_add_co_u32 v12, vcc_lo, s4, v14
	s_wait_alu 0xfffd
	v_add_co_ci_u32_e32 v13, vcc_lo, s5, v15, vcc_lo
	v_lshlrev_b64_e32 v[14:15], 3, v[20:21]
	s_delay_alu instid0(VALU_DEP_4) | instskip(SKIP_2) | instid1(VALU_DEP_3)
	v_add_co_u32 v16, vcc_lo, s4, v16
	s_wait_alu 0xfffd
	v_add_co_ci_u32_e32 v17, vcc_lo, s5, v17, vcc_lo
	v_add_co_u32 v14, vcc_lo, s4, v14
	s_wait_alu 0xfffd
	v_add_co_ci_u32_e32 v15, vcc_lo, s5, v15, vcc_lo
	s_clause 0x4
	global_store_b64 v[0:1], v[4:5], off
	global_store_b64 v[2:3], v[6:7], off
	;; [unrolled: 1-line block ×5, first 2 shown]
.LBB0_32:
	s_nop 0
	s_sendmsg sendmsg(MSG_DEALLOC_VGPRS)
	s_endpgm
	.section	.rodata,"a",@progbits
	.p2align	6, 0x0
	.amdhsa_kernel fft_rtc_fwd_len168_factors_2_3_4_7_wgs_140_tpt_14_dim2_sp_ip_CI_sbcc_twdbase8_3step_dirReg_intrinsicReadWrite
		.amdhsa_group_segment_fixed_size 0
		.amdhsa_private_segment_fixed_size 0
		.amdhsa_kernarg_size 88
		.amdhsa_user_sgpr_count 2
		.amdhsa_user_sgpr_dispatch_ptr 0
		.amdhsa_user_sgpr_queue_ptr 0
		.amdhsa_user_sgpr_kernarg_segment_ptr 1
		.amdhsa_user_sgpr_dispatch_id 0
		.amdhsa_user_sgpr_private_segment_size 0
		.amdhsa_wavefront_size32 1
		.amdhsa_uses_dynamic_stack 0
		.amdhsa_enable_private_segment 0
		.amdhsa_system_sgpr_workgroup_id_x 1
		.amdhsa_system_sgpr_workgroup_id_y 0
		.amdhsa_system_sgpr_workgroup_id_z 0
		.amdhsa_system_sgpr_workgroup_info 0
		.amdhsa_system_vgpr_workitem_id 0
		.amdhsa_next_free_vgpr 160
		.amdhsa_next_free_sgpr 20
		.amdhsa_reserve_vcc 1
		.amdhsa_float_round_mode_32 0
		.amdhsa_float_round_mode_16_64 0
		.amdhsa_float_denorm_mode_32 3
		.amdhsa_float_denorm_mode_16_64 3
		.amdhsa_fp16_overflow 0
		.amdhsa_workgroup_processor_mode 1
		.amdhsa_memory_ordered 1
		.amdhsa_forward_progress 0
		.amdhsa_round_robin_scheduling 0
		.amdhsa_exception_fp_ieee_invalid_op 0
		.amdhsa_exception_fp_denorm_src 0
		.amdhsa_exception_fp_ieee_div_zero 0
		.amdhsa_exception_fp_ieee_overflow 0
		.amdhsa_exception_fp_ieee_underflow 0
		.amdhsa_exception_fp_ieee_inexact 0
		.amdhsa_exception_int_div_zero 0
	.end_amdhsa_kernel
	.text
.Lfunc_end0:
	.size	fft_rtc_fwd_len168_factors_2_3_4_7_wgs_140_tpt_14_dim2_sp_ip_CI_sbcc_twdbase8_3step_dirReg_intrinsicReadWrite, .Lfunc_end0-fft_rtc_fwd_len168_factors_2_3_4_7_wgs_140_tpt_14_dim2_sp_ip_CI_sbcc_twdbase8_3step_dirReg_intrinsicReadWrite
                                        ; -- End function
	.section	.AMDGPU.csdata,"",@progbits
; Kernel info:
; codeLenInByte = 8908
; NumSgprs: 22
; NumVgprs: 160
; ScratchSize: 0
; MemoryBound: 0
; FloatMode: 240
; IeeeMode: 1
; LDSByteSize: 0 bytes/workgroup (compile time only)
; SGPRBlocks: 2
; VGPRBlocks: 19
; NumSGPRsForWavesPerEU: 22
; NumVGPRsForWavesPerEU: 160
; Occupancy: 9
; WaveLimiterHint : 1
; COMPUTE_PGM_RSRC2:SCRATCH_EN: 0
; COMPUTE_PGM_RSRC2:USER_SGPR: 2
; COMPUTE_PGM_RSRC2:TRAP_HANDLER: 0
; COMPUTE_PGM_RSRC2:TGID_X_EN: 1
; COMPUTE_PGM_RSRC2:TGID_Y_EN: 0
; COMPUTE_PGM_RSRC2:TGID_Z_EN: 0
; COMPUTE_PGM_RSRC2:TIDIG_COMP_CNT: 0
	.text
	.p2alignl 7, 3214868480
	.fill 96, 4, 3214868480
	.type	__hip_cuid_27c1390d32263a66,@object ; @__hip_cuid_27c1390d32263a66
	.section	.bss,"aw",@nobits
	.globl	__hip_cuid_27c1390d32263a66
__hip_cuid_27c1390d32263a66:
	.byte	0                               ; 0x0
	.size	__hip_cuid_27c1390d32263a66, 1

	.ident	"AMD clang version 19.0.0git (https://github.com/RadeonOpenCompute/llvm-project roc-6.4.0 25133 c7fe45cf4b819c5991fe208aaa96edf142730f1d)"
	.section	".note.GNU-stack","",@progbits
	.addrsig
	.addrsig_sym __hip_cuid_27c1390d32263a66
	.amdgpu_metadata
---
amdhsa.kernels:
  - .args:
      - .actual_access:  read_only
        .address_space:  global
        .offset:         0
        .size:           8
        .value_kind:     global_buffer
      - .address_space:  global
        .offset:         8
        .size:           8
        .value_kind:     global_buffer
      - .actual_access:  read_only
        .address_space:  global
        .offset:         16
        .size:           8
        .value_kind:     global_buffer
      - .actual_access:  read_only
        .address_space:  global
        .offset:         24
        .size:           8
        .value_kind:     global_buffer
      - .offset:         32
        .size:           8
        .value_kind:     by_value
      - .actual_access:  read_only
        .address_space:  global
        .offset:         40
        .size:           8
        .value_kind:     global_buffer
      - .actual_access:  read_only
        .address_space:  global
        .offset:         48
        .size:           8
        .value_kind:     global_buffer
      - .offset:         56
        .size:           4
        .value_kind:     by_value
      - .actual_access:  read_only
        .address_space:  global
        .offset:         64
        .size:           8
        .value_kind:     global_buffer
      - .actual_access:  read_only
        .address_space:  global
        .offset:         72
        .size:           8
        .value_kind:     global_buffer
      - .address_space:  global
        .offset:         80
        .size:           8
        .value_kind:     global_buffer
    .group_segment_fixed_size: 0
    .kernarg_segment_align: 8
    .kernarg_segment_size: 88
    .language:       OpenCL C
    .language_version:
      - 2
      - 0
    .max_flat_workgroup_size: 140
    .name:           fft_rtc_fwd_len168_factors_2_3_4_7_wgs_140_tpt_14_dim2_sp_ip_CI_sbcc_twdbase8_3step_dirReg_intrinsicReadWrite
    .private_segment_fixed_size: 0
    .sgpr_count:     22
    .sgpr_spill_count: 0
    .symbol:         fft_rtc_fwd_len168_factors_2_3_4_7_wgs_140_tpt_14_dim2_sp_ip_CI_sbcc_twdbase8_3step_dirReg_intrinsicReadWrite.kd
    .uniform_work_group_size: 1
    .uses_dynamic_stack: false
    .vgpr_count:     160
    .vgpr_spill_count: 0
    .wavefront_size: 32
    .workgroup_processor_mode: 1
amdhsa.target:   amdgcn-amd-amdhsa--gfx1201
amdhsa.version:
  - 1
  - 2
...

	.end_amdgpu_metadata
